;; amdgpu-corpus repo=ROCm/rocFFT kind=compiled arch=gfx906 opt=O3
	.text
	.amdgcn_target "amdgcn-amd-amdhsa--gfx906"
	.amdhsa_code_object_version 6
	.protected	bluestein_single_fwd_len300_dim1_sp_op_CI_CI ; -- Begin function bluestein_single_fwd_len300_dim1_sp_op_CI_CI
	.globl	bluestein_single_fwd_len300_dim1_sp_op_CI_CI
	.p2align	8
	.type	bluestein_single_fwd_len300_dim1_sp_op_CI_CI,@function
bluestein_single_fwd_len300_dim1_sp_op_CI_CI: ; @bluestein_single_fwd_len300_dim1_sp_op_CI_CI
; %bb.0:
	s_load_dwordx4 s[8:11], s[4:5], 0x28
	v_mul_u32_u24_e32 v1, 0x889, v0
	v_lshrrev_b32_e32 v1, 16, v1
	v_lshl_add_u32 v52, s6, 1, v1
	v_mov_b32_e32 v53, 0
	s_waitcnt lgkmcnt(0)
	v_cmp_gt_u64_e32 vcc, s[8:9], v[52:53]
	s_and_saveexec_b64 s[0:1], vcc
	s_cbranch_execz .LBB0_10
; %bb.1:
	s_load_dwordx4 s[0:3], s[4:5], 0x18
	s_load_dwordx4 s[12:15], s[4:5], 0x0
	v_mul_lo_u16_e32 v2, 30, v1
	v_sub_u16_e32 v81, v0, v2
	v_lshlrev_b32_e32 v83, 3, v81
	s_waitcnt lgkmcnt(0)
	s_load_dwordx4 s[16:19], s[0:1], 0x0
	s_movk_i32 s6, 0xcd
	s_load_dwordx2 s[4:5], s[4:5], 0x38
                                        ; implicit-def: $vgpr77
	s_waitcnt lgkmcnt(0)
	v_mad_u64_u32 v[2:3], s[0:1], s18, v52, 0
	v_mad_u64_u32 v[4:5], s[0:1], s16, v81, 0
	v_mov_b32_e32 v0, v3
	v_mov_b32_e32 v3, v5
	v_mad_u64_u32 v[5:6], s[0:1], s19, v52, v[0:1]
	v_mad_u64_u32 v[6:7], s[0:1], s17, v81, v[3:4]
	v_mov_b32_e32 v3, v5
	v_lshlrev_b64 v[2:3], 3, v[2:3]
	v_mov_b32_e32 v0, s11
	v_mov_b32_e32 v5, v6
	v_add_co_u32_e32 v6, vcc, s10, v2
	v_addc_co_u32_e32 v0, vcc, v0, v3, vcc
	v_lshlrev_b64 v[2:3], 3, v[4:5]
	s_mul_i32 s0, s17, 0xf0
	v_add_co_u32_e32 v2, vcc, v6, v2
	s_mul_hi_u32 s1, s16, 0xf0
	v_addc_co_u32_e32 v3, vcc, v0, v3, vcc
	s_add_i32 s0, s1, s0
	s_mul_i32 s1, s16, 0xf0
	v_mov_b32_e32 v0, s0
	v_add_co_u32_e32 v4, vcc, s1, v2
	v_addc_co_u32_e32 v5, vcc, v3, v0, vcc
	v_add_co_u32_e32 v6, vcc, s1, v4
	v_addc_co_u32_e32 v7, vcc, v5, v0, vcc
	;; [unrolled: 2-line block ×3, first 2 shown]
	global_load_dwordx2 v[10:11], v[2:3], off
	global_load_dwordx2 v[12:13], v[4:5], off
	;; [unrolled: 1-line block ×4, first 2 shown]
	global_load_dwordx2 v[71:72], v83, s[12:13]
	global_load_dwordx2 v[69:70], v83, s[12:13] offset:240
	global_load_dwordx2 v[67:68], v83, s[12:13] offset:480
	;; [unrolled: 1-line block ×3, first 2 shown]
	v_add_co_u32_e32 v2, vcc, s1, v8
	v_addc_co_u32_e32 v3, vcc, v9, v0, vcc
	global_load_dwordx2 v[4:5], v[2:3], off
	v_add_co_u32_e32 v2, vcc, s1, v2
	v_addc_co_u32_e32 v3, vcc, v3, v0, vcc
	global_load_dwordx2 v[6:7], v[2:3], off
	global_load_dwordx2 v[65:66], v83, s[12:13] offset:960
	global_load_dwordx2 v[59:60], v83, s[12:13] offset:1200
	v_add_co_u32_e32 v2, vcc, s1, v2
	v_addc_co_u32_e32 v3, vcc, v3, v0, vcc
	global_load_dwordx2 v[8:9], v[2:3], off
	v_add_co_u32_e32 v2, vcc, s1, v2
	v_addc_co_u32_e32 v3, vcc, v3, v0, vcc
	global_load_dwordx2 v[18:19], v[2:3], off
	global_load_dwordx2 v[63:64], v83, s[12:13] offset:1440
	global_load_dwordx2 v[57:58], v83, s[12:13] offset:1680
	v_add_co_u32_e32 v2, vcc, s1, v2
	v_addc_co_u32_e32 v3, vcc, v3, v0, vcc
	global_load_dwordx2 v[20:21], v[2:3], off
	global_load_dwordx2 v[55:56], v83, s[12:13] offset:1920
	v_add_co_u32_e32 v2, vcc, s1, v2
	v_addc_co_u32_e32 v3, vcc, v3, v0, vcc
	global_load_dwordx2 v[53:54], v83, s[12:13] offset:2160
	global_load_dwordx2 v[22:23], v[2:3], off
	v_and_b32_e32 v0, 1, v1
	v_mov_b32_e32 v1, 0x12c
	v_cmp_eq_u32_e32 vcc, 1, v0
	v_cndmask_b32_e32 v0, 0, v1, vcc
	v_lshlrev_b32_e32 v84, 3, v0
	v_add_u32_e32 v82, v84, v83
	s_load_dwordx4 s[8:11], s[2:3], 0x0
	s_mov_b32 s2, 0x3f737871
	s_mov_b32 s3, 0x3f167918
	;; [unrolled: 1-line block ×4, first 2 shown]
	v_add_co_u32_e32 v75, vcc, s12, v83
	s_waitcnt vmcnt(15)
	v_mul_f32_e32 v0, v11, v72
	v_mul_f32_e32 v1, v10, v72
	s_waitcnt vmcnt(14)
	v_mul_f32_e32 v2, v13, v70
	v_mul_f32_e32 v3, v12, v70
	v_fmac_f32_e32 v0, v10, v71
	v_fma_f32 v1, v11, v71, -v1
	v_fmac_f32_e32 v2, v12, v69
	v_fma_f32 v3, v13, v69, -v3
	ds_write2_b64 v82, v[0:1], v[2:3] offset1:30
	s_waitcnt vmcnt(13)
	v_mul_f32_e32 v0, v15, v68
	v_mul_f32_e32 v1, v14, v68
	s_waitcnt vmcnt(12)
	v_mul_f32_e32 v2, v17, v62
	v_mul_f32_e32 v3, v16, v62
	v_fmac_f32_e32 v0, v14, v67
	v_fma_f32 v1, v15, v67, -v1
	v_fmac_f32_e32 v2, v16, v61
	v_fma_f32 v3, v17, v61, -v3
	ds_write2_b64 v82, v[0:1], v[2:3] offset0:60 offset1:90
	s_waitcnt vmcnt(9)
	v_mul_f32_e32 v0, v5, v66
	v_mul_f32_e32 v1, v4, v66
	s_waitcnt vmcnt(8)
	v_mul_f32_e32 v2, v7, v60
	v_mul_f32_e32 v3, v6, v60
	v_fmac_f32_e32 v0, v4, v65
	v_fma_f32 v1, v5, v65, -v1
	v_fmac_f32_e32 v2, v6, v59
	v_fma_f32 v3, v7, v59, -v3
	ds_write2_b64 v82, v[0:1], v[2:3] offset0:120 offset1:150
	;; [unrolled: 11-line block ×3, first 2 shown]
	s_waitcnt vmcnt(2)
	v_mul_f32_e32 v0, v21, v56
	v_mul_f32_e32 v1, v20, v56
	s_waitcnt vmcnt(0)
	v_mul_f32_e32 v2, v23, v54
	v_mul_f32_e32 v3, v22, v54
	v_fmac_f32_e32 v0, v20, v55
	v_fma_f32 v1, v21, v55, -v1
	v_fmac_f32_e32 v2, v22, v53
	v_fma_f32 v3, v23, v53, -v3
	v_add_u32_e32 v17, 0x400, v82
	ds_write2_b64 v17, v[0:1], v[2:3] offset0:112 offset1:142
	s_waitcnt lgkmcnt(0)
	; wave barrier
	s_waitcnt lgkmcnt(0)
	ds_read2_b64 v[0:3], v82 offset1:30
	ds_read2_b64 v[4:7], v82 offset0:60 offset1:90
	ds_read2_b64 v[8:11], v82 offset0:120 offset1:150
	;; [unrolled: 1-line block ×4, first 2 shown]
	s_waitcnt lgkmcnt(0)
	v_add_f32_e32 v16, v0, v4
	v_sub_f32_e32 v26, v4, v8
	v_add_f32_e32 v22, v8, v12
	v_fma_f32 v22, -0.5, v22, v0
	v_sub_f32_e32 v23, v5, v19
	v_mov_b32_e32 v24, v22
	v_fmac_f32_e32 v24, 0x3f737871, v23
	v_sub_f32_e32 v25, v9, v13
	v_sub_f32_e32 v27, v18, v12
	v_fmac_f32_e32 v22, 0xbf737871, v23
	v_fmac_f32_e32 v24, 0x3f167918, v25
	v_add_f32_e32 v26, v26, v27
	v_fmac_f32_e32 v22, 0xbf167918, v25
	v_fmac_f32_e32 v24, 0x3e9e377a, v26
	;; [unrolled: 1-line block ×3, first 2 shown]
	v_add_f32_e32 v26, v4, v18
	v_fma_f32 v26, -0.5, v26, v0
	v_mov_b32_e32 v27, v26
	v_fmac_f32_e32 v27, 0xbf737871, v25
	v_sub_f32_e32 v0, v8, v4
	v_sub_f32_e32 v28, v12, v18
	v_fmac_f32_e32 v26, 0x3f737871, v25
	v_fmac_f32_e32 v27, 0x3f167918, v23
	v_add_f32_e32 v0, v0, v28
	v_fmac_f32_e32 v26, 0xbf167918, v23
	v_fmac_f32_e32 v27, 0x3e9e377a, v0
	v_fmac_f32_e32 v26, 0x3e9e377a, v0
	v_add_f32_e32 v0, v1, v5
	v_add_f32_e32 v0, v0, v9
	;; [unrolled: 1-line block ×5, first 2 shown]
	v_fma_f32 v25, -0.5, v0, v1
	v_add_f32_e32 v16, v16, v8
	v_sub_f32_e32 v0, v4, v18
	v_mov_b32_e32 v28, v25
	v_add_f32_e32 v16, v16, v12
	v_fmac_f32_e32 v28, 0xbf737871, v0
	v_sub_f32_e32 v4, v8, v12
	v_sub_f32_e32 v8, v5, v9
	;; [unrolled: 1-line block ×3, first 2 shown]
	v_fmac_f32_e32 v25, 0x3f737871, v0
	v_fmac_f32_e32 v28, 0xbf167918, v4
	v_add_f32_e32 v8, v8, v12
	v_fmac_f32_e32 v25, 0x3f167918, v4
	v_fmac_f32_e32 v28, 0x3e9e377a, v8
	;; [unrolled: 1-line block ×3, first 2 shown]
	v_add_f32_e32 v8, v5, v19
	v_fma_f32 v29, -0.5, v8, v1
	v_mov_b32_e32 v30, v29
	v_fmac_f32_e32 v30, 0x3f737871, v4
	v_fmac_f32_e32 v29, 0xbf737871, v4
	;; [unrolled: 1-line block ×4, first 2 shown]
	v_add_f32_e32 v0, v2, v6
	v_add_f32_e32 v0, v0, v10
	;; [unrolled: 1-line block ×3, first 2 shown]
	v_sub_f32_e32 v1, v9, v5
	v_sub_f32_e32 v5, v13, v19
	v_add_f32_e32 v12, v0, v20
	v_add_f32_e32 v0, v10, v14
	;; [unrolled: 1-line block ×3, first 2 shown]
	v_fma_f32 v9, -0.5, v0, v2
	v_fmac_f32_e32 v30, 0x3e9e377a, v1
	v_fmac_f32_e32 v29, 0x3e9e377a, v1
	v_sub_f32_e32 v0, v7, v21
	v_mov_b32_e32 v1, v9
	v_fmac_f32_e32 v1, 0x3f737871, v0
	v_sub_f32_e32 v4, v11, v15
	v_sub_f32_e32 v5, v6, v10
	;; [unrolled: 1-line block ×3, first 2 shown]
	v_fmac_f32_e32 v9, 0xbf737871, v0
	v_fmac_f32_e32 v1, 0x3f167918, v4
	v_add_f32_e32 v5, v5, v8
	v_fmac_f32_e32 v9, 0xbf167918, v4
	v_fmac_f32_e32 v1, 0x3e9e377a, v5
	;; [unrolled: 1-line block ×3, first 2 shown]
	v_add_f32_e32 v5, v6, v20
	v_fma_f32 v13, -0.5, v5, v2
	v_add_f32_e32 v16, v16, v18
	v_mov_b32_e32 v18, v13
	v_fmac_f32_e32 v18, 0xbf737871, v4
	v_fmac_f32_e32 v13, 0x3f737871, v4
	;; [unrolled: 1-line block ×4, first 2 shown]
	v_add_f32_e32 v0, v3, v7
	v_add_f32_e32 v0, v0, v11
	;; [unrolled: 1-line block ×5, first 2 shown]
	v_sub_f32_e32 v2, v10, v6
	v_sub_f32_e32 v5, v14, v20
	v_fma_f32 v31, -0.5, v0, v3
	v_add_f32_e32 v2, v2, v5
	v_sub_f32_e32 v0, v6, v20
	v_mov_b32_e32 v20, v31
	v_fmac_f32_e32 v18, 0x3e9e377a, v2
	v_fmac_f32_e32 v13, 0x3e9e377a, v2
	;; [unrolled: 1-line block ×3, first 2 shown]
	v_sub_f32_e32 v2, v10, v14
	v_sub_f32_e32 v4, v7, v11
	;; [unrolled: 1-line block ×3, first 2 shown]
	v_fmac_f32_e32 v31, 0x3f737871, v0
	v_fmac_f32_e32 v20, 0xbf167918, v2
	v_add_f32_e32 v4, v4, v5
	v_fmac_f32_e32 v31, 0x3f167918, v2
	v_fmac_f32_e32 v20, 0x3e9e377a, v4
	v_fmac_f32_e32 v31, 0x3e9e377a, v4
	v_add_f32_e32 v4, v7, v21
	v_fmac_f32_e32 v3, -0.5, v4
	v_mov_b32_e32 v10, v3
	v_fmac_f32_e32 v10, 0x3f737871, v2
	v_sub_f32_e32 v4, v11, v7
	v_sub_f32_e32 v5, v15, v21
	v_fmac_f32_e32 v10, 0xbf167918, v0
	v_add_f32_e32 v4, v4, v5
	v_fmac_f32_e32 v3, 0xbf737871, v2
	v_fmac_f32_e32 v10, 0x3e9e377a, v4
	;; [unrolled: 1-line block ×3, first 2 shown]
	v_mul_f32_e32 v33, 0xbf737871, v18
	v_fmac_f32_e32 v3, 0x3e9e377a, v4
	v_mul_f32_e32 v11, 0x3f4f1bbd, v1
	v_mul_f32_e32 v14, 0x3f737871, v10
	;; [unrolled: 1-line block ×5, first 2 shown]
	v_fmac_f32_e32 v33, 0x3e9e377a, v10
	v_mul_f32_e32 v10, 0x3f4f1bbd, v31
	v_add_f32_e32 v4, v16, v12
	v_fmac_f32_e32 v11, 0x3f167918, v20
	v_fmac_f32_e32 v14, 0x3e9e377a, v18
	v_fma_f32 v15, v3, s2, -v2
	v_fma_f32 v21, v31, s3, -v5
	v_fmac_f32_e32 v32, 0x3f4f1bbd, v20
	v_mul_f32_e32 v3, 0x3e9e377a, v3
	v_fma_f32 v31, v9, s0, -v10
	v_sub_f32_e32 v10, v16, v12
	v_mul_lo_u16_e32 v16, 10, v81
	v_add_f32_e32 v6, v24, v11
	v_add_f32_e32 v0, v27, v14
	;; [unrolled: 1-line block ×4, first 2 shown]
	v_fma_f32 v34, v13, s1, -v3
	v_lshl_add_u32 v85, v16, 3, v84
	v_add_f32_e32 v2, v26, v15
	v_add_f32_e32 v8, v22, v21
	;; [unrolled: 1-line block ×5, first 2 shown]
	v_sub_f32_e32 v12, v24, v11
	v_sub_f32_e32 v14, v27, v14
	;; [unrolled: 1-line block ×6, first 2 shown]
	; wave barrier
	ds_write_b128 v85, v[4:7]
	ds_write_b128 v85, v[0:3] offset:16
	ds_write_b128 v85, v[8:11] offset:32
	ds_write_b128 v85, v[12:15] offset:48
	v_mul_lo_u16_sdwa v0, v81, s6 dst_sel:DWORD dst_unused:UNUSED_PAD src0_sel:BYTE_0 src1_sel:DWORD
	v_lshrrev_b16_e32 v38, 11, v0
	v_mul_lo_u16_e32 v0, 10, v38
	v_sub_u16_e32 v0, v81, v0
	v_and_b32_e32 v39, 0xff, v0
	v_mov_b32_e32 v0, s14
	s_movk_i32 s6, 0x48
	v_mov_b32_e32 v1, s15
	v_sub_f32_e32 v20, v22, v21
	v_mad_u64_u32 v[22:23], s[6:7], v39, s6, v[0:1]
	v_sub_f32_e32 v19, v29, v34
	v_sub_f32_e32 v21, v25, v31
	ds_write_b128 v85, v[18:21] offset:64
	s_waitcnt lgkmcnt(0)
	; wave barrier
	s_waitcnt lgkmcnt(0)
	global_load_dwordx4 v[12:15], v[22:23], off
	global_load_dwordx4 v[8:11], v[22:23], off offset:16
	global_load_dwordx4 v[4:7], v[22:23], off offset:32
	;; [unrolled: 1-line block ×3, first 2 shown]
	global_load_dwordx2 v[73:74], v[22:23], off offset:64
	ds_read2_b64 v[18:21], v82 offset1:30
	ds_read2_b64 v[22:25], v82 offset0:60 offset1:90
	ds_read2_b64 v[26:29], v82 offset0:120 offset1:150
	;; [unrolled: 1-line block ×4, first 2 shown]
	s_waitcnt lgkmcnt(0)
	; wave barrier
	s_waitcnt lgkmcnt(0)
	v_mov_b32_e32 v16, s13
	v_addc_co_u32_e32 v76, vcc, 0, v16, vcc
	s_waitcnt vmcnt(4)
	v_mul_f32_e32 v17, v21, v13
	v_mul_f32_e32 v41, v20, v13
	v_fma_f32 v40, v20, v12, -v17
	v_fmac_f32_e32 v41, v21, v12
	v_mul_f32_e32 v17, v23, v15
	s_waitcnt vmcnt(3)
	v_mul_f32_e32 v21, v25, v9
	v_fma_f32 v17, v22, v14, -v17
	v_mul_f32_e32 v20, v22, v15
	v_fma_f32 v21, v24, v8, -v21
	v_mul_f32_e32 v22, v24, v9
	v_mul_f32_e32 v24, v26, v11
	v_fmac_f32_e32 v20, v23, v14
	v_fmac_f32_e32 v22, v25, v8
	v_mul_f32_e32 v23, v27, v11
	v_fmac_f32_e32 v24, v27, v10
	s_waitcnt vmcnt(2)
	v_mul_f32_e32 v25, v29, v5
	v_mul_f32_e32 v27, v31, v7
	v_fma_f32 v23, v26, v10, -v23
	v_fma_f32 v25, v28, v4, -v25
	v_mul_f32_e32 v26, v28, v5
	v_fma_f32 v27, v30, v6, -v27
	v_mul_f32_e32 v28, v30, v7
	s_waitcnt vmcnt(1)
	v_mul_f32_e32 v30, v32, v1
	v_fmac_f32_e32 v26, v29, v4
	v_fmac_f32_e32 v28, v31, v6
	v_mul_f32_e32 v29, v33, v1
	v_fmac_f32_e32 v30, v33, v0
	v_mul_f32_e32 v31, v35, v3
	s_waitcnt vmcnt(0)
	v_mul_f32_e32 v33, v37, v74
	v_fma_f32 v29, v32, v0, -v29
	v_fma_f32 v31, v34, v2, -v31
	v_mul_f32_e32 v32, v34, v3
	v_fma_f32 v33, v36, v73, -v33
	v_mul_f32_e32 v34, v36, v74
	v_add_f32_e32 v36, v23, v27
	v_fmac_f32_e32 v32, v35, v2
	v_fmac_f32_e32 v34, v37, v73
	v_fma_f32 v37, -0.5, v36, v18
	v_sub_f32_e32 v36, v20, v32
	v_mov_b32_e32 v42, v37
	v_fmac_f32_e32 v42, 0x3f737871, v36
	v_sub_f32_e32 v43, v24, v28
	v_sub_f32_e32 v44, v17, v23
	;; [unrolled: 1-line block ×3, first 2 shown]
	v_fmac_f32_e32 v37, 0xbf737871, v36
	v_fmac_f32_e32 v42, 0x3f167918, v43
	v_add_f32_e32 v44, v44, v45
	v_fmac_f32_e32 v37, 0xbf167918, v43
	v_fmac_f32_e32 v42, 0x3e9e377a, v44
	;; [unrolled: 1-line block ×3, first 2 shown]
	v_add_f32_e32 v44, v17, v31
	v_fma_f32 v44, -0.5, v44, v18
	v_mov_b32_e32 v45, v44
	v_add_f32_e32 v35, v18, v17
	v_fmac_f32_e32 v45, 0xbf737871, v43
	v_sub_f32_e32 v18, v23, v17
	v_sub_f32_e32 v46, v27, v31
	v_fmac_f32_e32 v44, 0x3f737871, v43
	v_fmac_f32_e32 v45, 0x3f167918, v36
	v_add_f32_e32 v18, v18, v46
	v_fmac_f32_e32 v44, 0xbf167918, v36
	v_fmac_f32_e32 v45, 0x3e9e377a, v18
	;; [unrolled: 1-line block ×3, first 2 shown]
	v_add_f32_e32 v18, v19, v20
	v_add_f32_e32 v18, v18, v24
	;; [unrolled: 1-line block ×7, first 2 shown]
	v_fma_f32 v46, -0.5, v18, v19
	v_add_f32_e32 v35, v35, v31
	v_sub_f32_e32 v17, v17, v31
	v_mov_b32_e32 v31, v46
	v_fmac_f32_e32 v31, 0xbf737871, v17
	v_sub_f32_e32 v18, v23, v27
	v_sub_f32_e32 v23, v20, v24
	;; [unrolled: 1-line block ×3, first 2 shown]
	v_fmac_f32_e32 v46, 0x3f737871, v17
	v_fmac_f32_e32 v31, 0xbf167918, v18
	v_add_f32_e32 v23, v23, v27
	v_fmac_f32_e32 v46, 0x3f167918, v18
	v_fmac_f32_e32 v31, 0x3e9e377a, v23
	;; [unrolled: 1-line block ×3, first 2 shown]
	v_add_f32_e32 v23, v20, v32
	v_fma_f32 v47, -0.5, v23, v19
	v_mov_b32_e32 v48, v47
	v_fmac_f32_e32 v48, 0x3f737871, v18
	v_fmac_f32_e32 v47, 0xbf737871, v18
	;; [unrolled: 1-line block ×4, first 2 shown]
	v_add_f32_e32 v17, v40, v21
	v_add_f32_e32 v17, v17, v25
	;; [unrolled: 1-line block ×5, first 2 shown]
	v_sub_f32_e32 v19, v24, v20
	v_sub_f32_e32 v20, v28, v32
	v_fma_f32 v28, -0.5, v17, v40
	v_add_f32_e32 v19, v19, v20
	v_sub_f32_e32 v17, v22, v34
	v_mov_b32_e32 v20, v28
	v_fmac_f32_e32 v48, 0x3e9e377a, v19
	v_fmac_f32_e32 v47, 0x3e9e377a, v19
	;; [unrolled: 1-line block ×3, first 2 shown]
	v_sub_f32_e32 v18, v26, v30
	v_sub_f32_e32 v19, v21, v25
	;; [unrolled: 1-line block ×3, first 2 shown]
	v_fmac_f32_e32 v28, 0xbf737871, v17
	v_fmac_f32_e32 v20, 0x3f167918, v18
	v_add_f32_e32 v19, v19, v23
	v_fmac_f32_e32 v28, 0xbf167918, v18
	v_fmac_f32_e32 v20, 0x3e9e377a, v19
	;; [unrolled: 1-line block ×3, first 2 shown]
	v_add_f32_e32 v19, v21, v33
	v_fmac_f32_e32 v40, -0.5, v19
	v_mov_b32_e32 v24, v40
	v_fmac_f32_e32 v24, 0xbf737871, v18
	v_fmac_f32_e32 v40, 0x3f737871, v18
	;; [unrolled: 1-line block ×4, first 2 shown]
	v_add_f32_e32 v17, v41, v22
	v_add_f32_e32 v17, v17, v26
	;; [unrolled: 1-line block ×5, first 2 shown]
	v_sub_f32_e32 v19, v25, v21
	v_sub_f32_e32 v23, v29, v33
	v_fma_f32 v32, -0.5, v17, v41
	v_add_f32_e32 v19, v19, v23
	v_sub_f32_e32 v17, v21, v33
	v_mov_b32_e32 v33, v32
	v_fmac_f32_e32 v24, 0x3e9e377a, v19
	v_fmac_f32_e32 v40, 0x3e9e377a, v19
	;; [unrolled: 1-line block ×3, first 2 shown]
	v_sub_f32_e32 v18, v25, v29
	v_sub_f32_e32 v19, v22, v26
	;; [unrolled: 1-line block ×3, first 2 shown]
	v_fmac_f32_e32 v32, 0x3f737871, v17
	v_fmac_f32_e32 v33, 0xbf167918, v18
	v_add_f32_e32 v19, v19, v21
	v_fmac_f32_e32 v32, 0x3f167918, v18
	v_fmac_f32_e32 v33, 0x3e9e377a, v19
	;; [unrolled: 1-line block ×3, first 2 shown]
	v_add_f32_e32 v19, v22, v34
	v_fmac_f32_e32 v41, -0.5, v19
	v_mov_b32_e32 v29, v41
	v_fmac_f32_e32 v29, 0x3f737871, v18
	v_sub_f32_e32 v19, v26, v22
	v_sub_f32_e32 v21, v30, v34
	v_fmac_f32_e32 v29, 0xbf167918, v17
	v_add_f32_e32 v19, v19, v21
	v_fmac_f32_e32 v41, 0xbf737871, v18
	v_fmac_f32_e32 v29, 0x3e9e377a, v19
	;; [unrolled: 1-line block ×3, first 2 shown]
	v_mul_f32_e32 v30, 0x3f167918, v33
	v_mul_f32_e32 v51, 0xbf167918, v20
	v_fmac_f32_e32 v41, 0x3e9e377a, v19
	v_fmac_f32_e32 v30, 0x3f4f1bbd, v20
	v_mul_f32_e32 v34, 0x3f737871, v29
	v_mul_f32_e32 v18, 0x3e9e377a, v40
	v_fmac_f32_e32 v51, 0x3f4f1bbd, v33
	v_mul_f32_e32 v33, 0xbf737871, v24
	v_add_f32_e32 v19, v42, v30
	v_fmac_f32_e32 v34, 0x3e9e377a, v24
	v_fma_f32 v36, v41, s2, -v18
	v_mul_f32_e32 v18, 0x3f4f1bbd, v28
	v_add_f32_e32 v20, v31, v51
	v_fmac_f32_e32 v33, 0x3e9e377a, v29
	v_mul_f32_e32 v24, 0x3e9e377a, v41
	v_sub_f32_e32 v29, v42, v30
	v_sub_f32_e32 v30, v31, v51
	v_mul_u32_u24_e32 v31, 0x64, v38
	v_fma_f32 v50, v32, s3, -v18
	v_fma_f32 v40, v40, s1, -v24
	v_mul_f32_e32 v26, 0x3f4f1bbd, v32
	v_add_u32_e32 v31, v31, v39
	v_add_f32_e32 v17, v35, v27
	v_add_f32_e32 v23, v44, v36
	;; [unrolled: 1-line block ×4, first 2 shown]
	v_fma_f32 v41, v28, s0, -v26
	v_sub_f32_e32 v36, v44, v36
	v_sub_f32_e32 v32, v37, v50
	;; [unrolled: 1-line block ×3, first 2 shown]
	v_lshl_add_u32 v86, v31, 3, v84
	v_add_f32_e32 v21, v45, v34
	v_add_f32_e32 v22, v48, v33
	v_add_f32_e32 v24, v47, v40
	v_add_f32_e32 v26, v46, v41
	v_sub_f32_e32 v27, v35, v27
	v_sub_f32_e32 v34, v45, v34
	;; [unrolled: 1-line block ×5, first 2 shown]
	ds_write2_b64 v86, v[17:18], v[19:20] offset1:10
	ds_write2_b64 v86, v[21:22], v[23:24] offset0:20 offset1:30
	ds_write2_b64 v86, v[25:26], v[27:28] offset0:40 offset1:50
	;; [unrolled: 1-line block ×4, first 2 shown]
	s_waitcnt lgkmcnt(0)
	; wave barrier
	s_waitcnt lgkmcnt(0)
	ds_read2_b64 v[40:43], v82 offset1:30
	ds_read2_b64 v[36:39], v82 offset0:60 offset1:100
	ds_read2_b64 v[48:51], v82 offset0:200 offset1:230
	;; [unrolled: 1-line block ×3, first 2 shown]
	ds_read_b64 v[79:80], v82 offset:2080
	v_cmp_gt_u16_e64 s[0:1], 10, v81
	s_and_saveexec_b64 s[2:3], s[0:1]
	s_cbranch_execz .LBB0_3
; %bb.2:
	ds_read2_b64 v[32:35], v82 offset0:90 offset1:190
	ds_read_b64 v[77:78], v82 offset:2320
.LBB0_3:
	s_or_b64 exec, exec, s[2:3]
	v_lshlrev_b32_e32 v16, 4, v81
	v_add_u32_e32 v17, 0x1e0, v16
	global_load_dwordx4 v[20:23], v16, s[14:15] offset:720
	global_load_dwordx4 v[24:27], v17, s[14:15] offset:720
	v_add_u32_e32 v16, 0x3c0, v16
	global_load_dwordx4 v[28:31], v16, s[14:15] offset:720
	v_add_co_u32_e32 v16, vcc, 0x5a, v81
	v_add_co_u32_e64 v17, s[2:3], -10, v81
	v_addc_co_u32_e64 v19, s[2:3], 0, -1, s[2:3]
	v_cndmask_b32_e64 v16, v17, v16, s[0:1]
	v_addc_co_u32_e64 v17, s[2:3], 0, 0, vcc
	v_cndmask_b32_e64 v17, v19, v17, s[0:1]
	v_lshlrev_b64 v[16:17], 4, v[16:17]
	v_mov_b32_e32 v18, s15
	v_add_co_u32_e32 v16, vcc, s14, v16
	v_addc_co_u32_e32 v17, vcc, v18, v17, vcc
	global_load_dwordx4 v[16:19], v[16:17], off offset:720
	s_waitcnt vmcnt(3) lgkmcnt(3)
	v_mul_f32_e32 v87, v39, v21
	v_mul_f32_e32 v88, v38, v21
	s_waitcnt lgkmcnt(2)
	v_mul_f32_e32 v89, v49, v23
	v_mul_f32_e32 v90, v48, v23
	v_fma_f32 v38, v38, v20, -v87
	v_fmac_f32_e32 v88, v39, v20
	v_fma_f32 v39, v48, v22, -v89
	v_fmac_f32_e32 v90, v49, v22
	s_waitcnt vmcnt(2) lgkmcnt(1)
	v_mul_f32_e32 v48, v45, v25
	v_mul_f32_e32 v87, v44, v25
	;; [unrolled: 1-line block ×4, first 2 shown]
	s_waitcnt vmcnt(1) lgkmcnt(0)
	v_mul_f32_e32 v92, v80, v31
	v_mul_f32_e32 v91, v47, v29
	v_mul_f32_e32 v94, v79, v31
	v_fma_f32 v44, v44, v24, -v48
	v_fmac_f32_e32 v87, v45, v24
	v_fma_f32 v45, v50, v26, -v49
	v_fmac_f32_e32 v89, v51, v26
	v_fma_f32 v95, v79, v30, -v92
	v_add_f32_e32 v48, v38, v39
	v_add_f32_e32 v50, v41, v88
	;; [unrolled: 1-line block ×3, first 2 shown]
	v_mul_f32_e32 v93, v46, v29
	v_fma_f32 v51, v46, v28, -v91
	v_add_f32_e32 v46, v40, v38
	v_sub_f32_e32 v91, v88, v90
	v_fma_f32 v49, -0.5, v48, v40
	v_add_f32_e32 v48, v50, v90
	v_fma_f32 v50, -0.5, v79, v41
	v_add_f32_e32 v40, v44, v45
	v_add_f32_e32 v90, v87, v89
	v_fmac_f32_e32 v93, v47, v28
	v_fmac_f32_e32 v94, v80, v30
	v_sub_f32_e32 v38, v38, v39
	v_add_f32_e32 v47, v46, v39
	v_add_f32_e32 v39, v42, v44
	;; [unrolled: 1-line block ×4, first 2 shown]
	v_mov_b32_e32 v79, v49
	v_mov_b32_e32 v80, v50
	v_fma_f32 v42, -0.5, v40, v42
	v_fmac_f32_e32 v43, -0.5, v90
	v_sub_f32_e32 v41, v87, v89
	v_sub_f32_e32 v44, v44, v45
	v_fmac_f32_e32 v49, 0xbf5db3d7, v91
	v_fmac_f32_e32 v50, 0x3f5db3d7, v38
	v_add_f32_e32 v88, v46, v89
	v_add_f32_e32 v89, v92, v95
	v_fmac_f32_e32 v79, 0x3f5db3d7, v91
	v_fmac_f32_e32 v80, 0xbf5db3d7, v38
	v_mov_b32_e32 v91, v42
	v_mov_b32_e32 v92, v43
	s_waitcnt vmcnt(0)
	v_mul_f32_e32 v38, v35, v17
	v_fmac_f32_e32 v42, 0xbf5db3d7, v41
	v_fmac_f32_e32 v43, 0x3f5db3d7, v44
	;; [unrolled: 1-line block ×4, first 2 shown]
	v_mul_f32_e32 v41, v34, v17
	v_fma_f32 v44, v34, v16, -v38
	v_add_f32_e32 v34, v51, v95
	v_add_f32_e32 v87, v39, v45
	v_mul_f32_e32 v39, v78, v19
	v_fma_f32 v36, -0.5, v34, v36
	v_mul_f32_e32 v45, v77, v19
	v_fma_f32 v46, v77, v18, -v39
	v_sub_f32_e32 v34, v93, v94
	v_mov_b32_e32 v77, v36
	v_fmac_f32_e32 v77, 0x3f5db3d7, v34
	v_fmac_f32_e32 v36, 0xbf5db3d7, v34
	v_add_f32_e32 v34, v37, v93
	v_add_f32_e32 v90, v34, v94
	;; [unrolled: 1-line block ×3, first 2 shown]
	v_fmac_f32_e32 v37, -0.5, v34
	v_fmac_f32_e32 v45, v78, v18
	v_sub_f32_e32 v34, v51, v95
	v_mov_b32_e32 v78, v37
	v_fmac_f32_e32 v78, 0xbf5db3d7, v34
	v_fmac_f32_e32 v37, 0x3f5db3d7, v34
	v_add_f32_e32 v34, v44, v46
	v_fmac_f32_e32 v41, v35, v16
	v_fma_f32 v38, -0.5, v34, v32
	v_sub_f32_e32 v35, v41, v45
	v_mov_b32_e32 v34, v38
	v_fmac_f32_e32 v34, 0x3f5db3d7, v35
	v_fmac_f32_e32 v38, 0xbf5db3d7, v35
	v_add_f32_e32 v35, v41, v45
	v_fma_f32 v39, -0.5, v35, v33
	v_sub_f32_e32 v40, v44, v46
	v_mov_b32_e32 v35, v39
	v_fmac_f32_e32 v35, 0xbf5db3d7, v40
	v_fmac_f32_e32 v39, 0x3f5db3d7, v40
	v_lshl_add_u32 v40, v81, 3, v84
	ds_write_b64 v40, v[79:80] offset:800
	ds_write_b64 v40, v[49:50] offset:1600
	ds_write2_b64 v82, v[47:48], v[87:88] offset1:30
	ds_write_b64 v40, v[91:92] offset:1040
	ds_write_b64 v40, v[42:43] offset:1840
	ds_write2_b64 v82, v[89:90], v[77:78] offset0:60 offset1:160
	ds_write_b64 v82, v[36:37] offset:2080
	s_and_saveexec_b64 s[2:3], s[0:1]
	s_cbranch_execz .LBB0_5
; %bb.4:
	v_add_f32_e32 v33, v33, v41
	v_add_f32_e32 v32, v32, v44
	v_add_f32_e32 v33, v33, v45
	v_add_f32_e32 v32, v32, v46
	ds_write_b64 v82, v[32:33] offset:720
	v_add_u32_e32 v32, 0x400, v40
	ds_write2_b64 v32, v[34:35], v[38:39] offset0:62 offset1:162
.LBB0_5:
	s_or_b64 exec, exec, s[2:3]
	s_waitcnt lgkmcnt(0)
	; wave barrier
	s_waitcnt lgkmcnt(0)
	global_load_dwordx2 v[32:33], v[75:76], off offset:2400
	s_add_u32 s2, s12, 0x960
	s_addc_u32 s3, s13, 0
	global_load_dwordx2 v[36:37], v83, s[2:3] offset:240
	global_load_dwordx2 v[49:50], v83, s[2:3] offset:480
	;; [unrolled: 1-line block ×9, first 2 shown]
	v_add_u32_e32 v51, 0x400, v82
	ds_read2_b64 v[41:44], v82 offset1:30
	ds_read2_b64 v[45:48], v82 offset0:60 offset1:90
	ds_read2_b64 v[75:78], v82 offset0:120 offset1:150
	;; [unrolled: 1-line block ×4, first 2 shown]
	s_waitcnt vmcnt(6) lgkmcnt(3)
	v_mul_f32_e32 v107, v48, v80
	s_waitcnt vmcnt(5) lgkmcnt(2)
	v_mul_f32_e32 v108, v76, v96
	s_waitcnt vmcnt(4)
	v_mul_f32_e32 v109, v78, v98
	v_mul_f32_e32 v83, v42, v33
	;; [unrolled: 1-line block ×3, first 2 shown]
	v_fma_f32 v83, v41, v32, -v83
	v_fmac_f32_e32 v84, v42, v32
	v_mul_f32_e32 v32, v44, v37
	v_mul_f32_e32 v33, v43, v37
	;; [unrolled: 1-line block ×7, first 2 shown]
	s_waitcnt vmcnt(3) lgkmcnt(1)
	v_mul_f32_e32 v110, v88, v100
	v_mul_f32_e32 v96, v87, v100
	s_waitcnt vmcnt(2)
	v_mul_f32_e32 v111, v90, v102
	v_mul_f32_e32 v98, v89, v102
	s_waitcnt vmcnt(1) lgkmcnt(0)
	v_mul_f32_e32 v112, v92, v104
	v_mul_f32_e32 v100, v91, v104
	s_waitcnt vmcnt(0)
	v_mul_f32_e32 v104, v94, v106
	v_mul_f32_e32 v102, v93, v106
	v_fma_f32 v32, v43, v36, -v32
	v_fmac_f32_e32 v33, v44, v36
	v_fma_f32 v36, v45, v49, -v41
	v_fma_f32 v41, v47, v79, -v107
	v_fmac_f32_e32 v42, v48, v79
	v_fmac_f32_e32 v37, v46, v49
	v_fma_f32 v49, v75, v95, -v108
	v_fmac_f32_e32 v50, v76, v95
	v_fma_f32 v79, v77, v97, -v109
	;; [unrolled: 2-line block ×6, first 2 shown]
	v_fmac_f32_e32 v102, v94, v105
	ds_write2_b64 v82, v[83:84], v[32:33] offset1:30
	ds_write2_b64 v82, v[36:37], v[41:42] offset0:60 offset1:90
	ds_write2_b64 v82, v[49:50], v[79:80] offset0:120 offset1:150
	ds_write2_b64 v82, v[95:96], v[97:98] offset0:180 offset1:210
	ds_write2_b64 v51, v[99:100], v[101:102] offset0:112 offset1:142
	s_waitcnt lgkmcnt(0)
	; wave barrier
	s_waitcnt lgkmcnt(0)
	ds_read2_b64 v[41:44], v82 offset1:30
	ds_read2_b64 v[45:48], v82 offset0:60 offset1:90
	ds_read2_b64 v[75:78], v82 offset0:120 offset1:150
	;; [unrolled: 1-line block ×4, first 2 shown]
	s_waitcnt lgkmcnt(0)
	v_add_f32_e32 v32, v41, v45
	v_sub_f32_e32 v49, v45, v75
	v_add_f32_e32 v33, v75, v87
	v_sub_f32_e32 v50, v91, v87
	v_add_f32_e32 v79, v45, v91
	v_fma_f32 v33, -0.5, v33, v41
	v_sub_f32_e32 v36, v46, v92
	v_add_f32_e32 v49, v49, v50
	v_fma_f32 v50, -0.5, v79, v41
	v_mov_b32_e32 v79, v33
	v_sub_f32_e32 v37, v76, v88
	v_fmac_f32_e32 v33, 0x3f737871, v36
	v_fmac_f32_e32 v79, 0xbf737871, v36
	v_mov_b32_e32 v80, v50
	v_fmac_f32_e32 v33, 0x3f167918, v37
	v_fmac_f32_e32 v79, 0xbf167918, v37
	;; [unrolled: 1-line block ×5, first 2 shown]
	v_sub_f32_e32 v41, v75, v45
	v_sub_f32_e32 v49, v87, v91
	v_fmac_f32_e32 v50, 0xbf737871, v37
	v_add_f32_e32 v37, v76, v88
	v_fmac_f32_e32 v80, 0xbf167918, v36
	v_add_f32_e32 v41, v41, v49
	v_fmac_f32_e32 v50, 0x3f167918, v36
	v_fma_f32 v37, -0.5, v37, v42
	v_fmac_f32_e32 v80, 0x3e9e377a, v41
	v_fmac_f32_e32 v50, 0x3e9e377a, v41
	v_sub_f32_e32 v41, v45, v91
	v_mov_b32_e32 v49, v37
	v_add_f32_e32 v32, v32, v75
	v_fmac_f32_e32 v49, 0x3f737871, v41
	v_sub_f32_e32 v45, v75, v87
	v_sub_f32_e32 v75, v46, v76
	;; [unrolled: 1-line block ×3, first 2 shown]
	v_fmac_f32_e32 v37, 0xbf737871, v41
	v_fmac_f32_e32 v49, 0x3f167918, v45
	v_add_f32_e32 v75, v75, v83
	v_fmac_f32_e32 v37, 0xbf167918, v45
	v_fmac_f32_e32 v49, 0x3e9e377a, v75
	;; [unrolled: 1-line block ×3, first 2 shown]
	v_add_f32_e32 v75, v46, v92
	v_fma_f32 v83, -0.5, v75, v42
	v_mov_b32_e32 v84, v83
	v_fmac_f32_e32 v84, 0xbf737871, v45
	v_fmac_f32_e32 v83, 0x3f737871, v45
	;; [unrolled: 1-line block ×4, first 2 shown]
	v_add_f32_e32 v41, v43, v47
	v_add_f32_e32 v41, v41, v77
	;; [unrolled: 1-line block ×5, first 2 shown]
	v_sub_f32_e32 v42, v76, v46
	v_sub_f32_e32 v46, v88, v92
	v_add_f32_e32 v87, v41, v93
	v_add_f32_e32 v41, v77, v89
	;; [unrolled: 1-line block ×4, first 2 shown]
	v_fma_f32 v76, -0.5, v41, v43
	v_fmac_f32_e32 v84, 0x3e9e377a, v42
	v_fmac_f32_e32 v83, 0x3e9e377a, v42
	v_sub_f32_e32 v41, v48, v94
	v_mov_b32_e32 v42, v76
	v_fmac_f32_e32 v42, 0xbf737871, v41
	v_sub_f32_e32 v45, v78, v90
	v_sub_f32_e32 v46, v47, v77
	;; [unrolled: 1-line block ×3, first 2 shown]
	v_fmac_f32_e32 v76, 0x3f737871, v41
	v_fmac_f32_e32 v42, 0xbf167918, v45
	v_add_f32_e32 v46, v46, v75
	v_fmac_f32_e32 v76, 0x3f167918, v45
	v_fmac_f32_e32 v42, 0x3e9e377a, v46
	;; [unrolled: 1-line block ×3, first 2 shown]
	v_add_f32_e32 v46, v47, v93
	v_add_f32_e32 v36, v36, v88
	v_fma_f32 v88, -0.5, v46, v43
	v_add_f32_e32 v32, v32, v91
	v_mov_b32_e32 v91, v88
	v_fmac_f32_e32 v91, 0x3f737871, v45
	v_fmac_f32_e32 v88, 0xbf737871, v45
	v_fmac_f32_e32 v91, 0xbf167918, v41
	v_fmac_f32_e32 v88, 0x3f167918, v41
	v_add_f32_e32 v41, v44, v48
	v_add_f32_e32 v41, v41, v78
	;; [unrolled: 1-line block ×6, first 2 shown]
	v_sub_f32_e32 v43, v77, v47
	v_sub_f32_e32 v46, v89, v93
	v_fma_f32 v95, -0.5, v41, v44
	v_add_f32_e32 v43, v43, v46
	v_sub_f32_e32 v41, v47, v93
	v_mov_b32_e32 v93, v95
	v_fmac_f32_e32 v91, 0x3e9e377a, v43
	v_fmac_f32_e32 v88, 0x3e9e377a, v43
	;; [unrolled: 1-line block ×3, first 2 shown]
	v_sub_f32_e32 v43, v77, v89
	v_sub_f32_e32 v45, v48, v78
	;; [unrolled: 1-line block ×3, first 2 shown]
	v_fmac_f32_e32 v95, 0xbf737871, v41
	v_fmac_f32_e32 v93, 0x3f167918, v43
	v_add_f32_e32 v45, v45, v46
	v_fmac_f32_e32 v95, 0xbf167918, v43
	v_fmac_f32_e32 v93, 0x3e9e377a, v45
	;; [unrolled: 1-line block ×3, first 2 shown]
	v_add_f32_e32 v45, v48, v94
	v_fmac_f32_e32 v44, -0.5, v45
	v_mov_b32_e32 v77, v44
	v_fmac_f32_e32 v77, 0xbf737871, v43
	v_sub_f32_e32 v45, v78, v48
	v_sub_f32_e32 v46, v90, v94
	v_fmac_f32_e32 v44, 0x3f737871, v43
	v_fmac_f32_e32 v77, 0x3f167918, v41
	v_add_f32_e32 v45, v45, v46
	v_fmac_f32_e32 v44, 0xbf167918, v41
	v_fmac_f32_e32 v77, 0x3e9e377a, v45
	v_fmac_f32_e32 v44, 0x3e9e377a, v45
	v_mul_f32_e32 v78, 0xbf167918, v93
	v_mul_f32_e32 v89, 0xbf737871, v77
	;; [unrolled: 1-line block ×8, first 2 shown]
	v_fmac_f32_e32 v78, 0x3f4f1bbd, v42
	v_fmac_f32_e32 v89, 0x3e9e377a, v91
	;; [unrolled: 1-line block ×8, first 2 shown]
	v_add_f32_e32 v45, v32, v87
	v_add_f32_e32 v47, v79, v78
	;; [unrolled: 1-line block ×10, first 2 shown]
	v_sub_f32_e32 v77, v32, v87
	v_sub_f32_e32 v87, v79, v78
	;; [unrolled: 1-line block ×10, first 2 shown]
	; wave barrier
	ds_write_b128 v85, v[45:48]
	ds_write_b128 v85, v[41:44] offset:16
	ds_write_b128 v85, v[75:78] offset:32
	;; [unrolled: 1-line block ×4, first 2 shown]
	s_waitcnt lgkmcnt(0)
	; wave barrier
	s_waitcnt lgkmcnt(0)
	ds_read2_b64 v[41:44], v82 offset1:30
	ds_read2_b64 v[45:48], v82 offset0:60 offset1:90
	ds_read2_b64 v[75:78], v82 offset0:120 offset1:150
	;; [unrolled: 1-line block ×4, first 2 shown]
	s_waitcnt lgkmcnt(4)
	v_mul_f32_e32 v32, v13, v44
	v_mul_f32_e32 v13, v13, v43
	v_fmac_f32_e32 v32, v12, v43
	v_fma_f32 v12, v12, v44, -v13
	s_waitcnt lgkmcnt(3)
	v_mul_f32_e32 v13, v15, v46
	v_mul_f32_e32 v15, v15, v45
	v_fmac_f32_e32 v13, v14, v45
	v_fma_f32 v14, v14, v46, -v15
	v_mul_f32_e32 v15, v9, v48
	v_mul_f32_e32 v9, v9, v47
	v_fmac_f32_e32 v15, v8, v47
	v_fma_f32 v8, v8, v48, -v9
	s_waitcnt lgkmcnt(2)
	v_mul_f32_e32 v9, v11, v76
	v_mul_f32_e32 v11, v11, v75
	v_fmac_f32_e32 v9, v10, v75
	v_fma_f32 v10, v10, v76, -v11
	;; [unrolled: 9-line block ×3, first 2 shown]
	v_mul_f32_e32 v7, v1, v90
	v_mul_f32_e32 v1, v1, v89
	v_fmac_f32_e32 v7, v0, v89
	v_fma_f32 v0, v0, v90, -v1
	s_waitcnt lgkmcnt(0)
	v_mul_f32_e32 v1, v3, v92
	v_mul_f32_e32 v3, v3, v91
	v_add_f32_e32 v37, v9, v5
	v_fmac_f32_e32 v1, v2, v91
	v_fma_f32 v2, v2, v92, -v3
	v_fma_f32 v37, -0.5, v37, v41
	v_sub_f32_e32 v43, v14, v2
	v_mov_b32_e32 v44, v37
	v_fmac_f32_e32 v44, 0xbf737871, v43
	v_sub_f32_e32 v45, v10, v6
	v_sub_f32_e32 v46, v13, v9
	;; [unrolled: 1-line block ×3, first 2 shown]
	v_fmac_f32_e32 v37, 0x3f737871, v43
	v_fmac_f32_e32 v44, 0xbf167918, v45
	v_add_f32_e32 v46, v46, v47
	v_fmac_f32_e32 v37, 0x3f167918, v45
	v_fmac_f32_e32 v44, 0x3e9e377a, v46
	;; [unrolled: 1-line block ×3, first 2 shown]
	v_add_f32_e32 v46, v13, v1
	v_add_f32_e32 v36, v41, v13
	v_fma_f32 v41, -0.5, v46, v41
	v_mov_b32_e32 v46, v41
	v_add_f32_e32 v36, v36, v9
	v_fmac_f32_e32 v46, 0x3f737871, v45
	v_fmac_f32_e32 v41, 0xbf737871, v45
	v_add_f32_e32 v45, v10, v6
	v_add_f32_e32 v36, v36, v5
	v_sub_f32_e32 v47, v9, v13
	v_sub_f32_e32 v48, v5, v1
	v_fma_f32 v45, -0.5, v45, v42
	v_add_f32_e32 v36, v36, v1
	v_fmac_f32_e32 v46, 0xbf167918, v43
	v_add_f32_e32 v47, v47, v48
	v_fmac_f32_e32 v41, 0x3f167918, v43
	v_sub_f32_e32 v1, v13, v1
	v_mov_b32_e32 v13, v45
	v_fmac_f32_e32 v46, 0x3e9e377a, v47
	v_fmac_f32_e32 v41, 0x3e9e377a, v47
	v_fmac_f32_e32 v13, 0x3f737871, v1
	v_sub_f32_e32 v5, v9, v5
	v_sub_f32_e32 v9, v14, v10
	;; [unrolled: 1-line block ×3, first 2 shown]
	v_fmac_f32_e32 v45, 0xbf737871, v1
	v_fmac_f32_e32 v13, 0x3f167918, v5
	v_add_f32_e32 v9, v9, v47
	v_fmac_f32_e32 v45, 0xbf167918, v5
	v_fmac_f32_e32 v13, 0x3e9e377a, v9
	;; [unrolled: 1-line block ×3, first 2 shown]
	v_add_f32_e32 v9, v14, v2
	v_add_f32_e32 v43, v42, v14
	v_fma_f32 v42, -0.5, v9, v42
	v_mov_b32_e32 v47, v42
	v_fmac_f32_e32 v47, 0xbf737871, v5
	v_fmac_f32_e32 v42, 0x3f737871, v5
	;; [unrolled: 1-line block ×4, first 2 shown]
	v_add_f32_e32 v1, v32, v15
	v_mul_f32_e32 v3, v74, v94
	v_add_f32_e32 v43, v43, v10
	v_add_f32_e32 v1, v1, v11
	v_fmac_f32_e32 v3, v73, v93
	v_add_f32_e32 v43, v43, v6
	v_add_f32_e32 v1, v1, v7
	v_mul_f32_e32 v33, v74, v93
	v_add_f32_e32 v43, v43, v2
	v_sub_f32_e32 v9, v10, v14
	v_sub_f32_e32 v2, v6, v2
	v_add_f32_e32 v10, v1, v3
	v_add_f32_e32 v1, v11, v7
	v_fma_f32 v33, v73, v94, -v33
	v_add_f32_e32 v2, v9, v2
	v_fma_f32 v9, -0.5, v1, v32
	v_sub_f32_e32 v1, v8, v33
	v_mov_b32_e32 v5, v9
	v_fmac_f32_e32 v47, 0x3e9e377a, v2
	v_fmac_f32_e32 v42, 0x3e9e377a, v2
	;; [unrolled: 1-line block ×3, first 2 shown]
	v_sub_f32_e32 v2, v4, v0
	v_sub_f32_e32 v6, v15, v11
	;; [unrolled: 1-line block ×3, first 2 shown]
	v_fmac_f32_e32 v9, 0x3f737871, v1
	v_fmac_f32_e32 v5, 0xbf167918, v2
	v_add_f32_e32 v6, v6, v14
	v_fmac_f32_e32 v9, 0x3f167918, v2
	v_fmac_f32_e32 v5, 0x3e9e377a, v6
	v_fmac_f32_e32 v9, 0x3e9e377a, v6
	v_add_f32_e32 v6, v15, v3
	v_fmac_f32_e32 v32, -0.5, v6
	v_mov_b32_e32 v14, v32
	v_fmac_f32_e32 v14, 0x3f737871, v2
	v_fmac_f32_e32 v32, 0xbf737871, v2
	;; [unrolled: 1-line block ×4, first 2 shown]
	v_add_f32_e32 v1, v12, v8
	v_add_f32_e32 v1, v1, v4
	v_sub_f32_e32 v6, v11, v15
	v_sub_f32_e32 v48, v7, v3
	v_add_f32_e32 v1, v1, v0
	v_add_f32_e32 v6, v6, v48
	;; [unrolled: 1-line block ×4, first 2 shown]
	v_fma_f32 v49, -0.5, v1, v12
	v_sub_f32_e32 v1, v15, v3
	v_mov_b32_e32 v3, v49
	v_fmac_f32_e32 v14, 0x3e9e377a, v6
	v_fmac_f32_e32 v32, 0x3e9e377a, v6
	;; [unrolled: 1-line block ×3, first 2 shown]
	v_sub_f32_e32 v2, v11, v7
	v_sub_f32_e32 v6, v8, v4
	;; [unrolled: 1-line block ×3, first 2 shown]
	v_fmac_f32_e32 v49, 0xbf737871, v1
	v_fmac_f32_e32 v3, 0x3f167918, v2
	v_add_f32_e32 v6, v6, v7
	v_fmac_f32_e32 v49, 0xbf167918, v2
	v_fmac_f32_e32 v3, 0x3e9e377a, v6
	v_fmac_f32_e32 v49, 0x3e9e377a, v6
	v_add_f32_e32 v6, v8, v33
	v_fmac_f32_e32 v12, -0.5, v6
	v_mov_b32_e32 v7, v12
	v_fmac_f32_e32 v7, 0xbf737871, v2
	v_sub_f32_e32 v4, v4, v8
	v_sub_f32_e32 v0, v0, v33
	v_fmac_f32_e32 v12, 0x3f737871, v2
	v_fmac_f32_e32 v7, 0x3f167918, v1
	v_add_f32_e32 v0, v4, v0
	v_fmac_f32_e32 v12, 0xbf167918, v1
	v_fmac_f32_e32 v7, 0x3e9e377a, v0
	;; [unrolled: 1-line block ×3, first 2 shown]
	v_mul_f32_e32 v11, 0xbf167918, v3
	v_mul_f32_e32 v15, 0xbf737871, v7
	;; [unrolled: 1-line block ×8, first 2 shown]
	v_fmac_f32_e32 v11, 0x3f4f1bbd, v5
	v_fmac_f32_e32 v15, 0x3e9e377a, v14
	;; [unrolled: 1-line block ×8, first 2 shown]
	v_add_f32_e32 v0, v36, v10
	v_add_f32_e32 v2, v44, v11
	;; [unrolled: 1-line block ×10, first 2 shown]
	v_sub_f32_e32 v10, v36, v10
	v_sub_f32_e32 v12, v44, v11
	;; [unrolled: 1-line block ×10, first 2 shown]
	s_waitcnt lgkmcnt(0)
	; wave barrier
	ds_write2_b64 v86, v[0:1], v[2:3] offset1:10
	ds_write2_b64 v86, v[4:5], v[6:7] offset0:20 offset1:30
	ds_write2_b64 v86, v[8:9], v[10:11] offset0:40 offset1:50
	;; [unrolled: 1-line block ×4, first 2 shown]
	s_waitcnt lgkmcnt(0)
	; wave barrier
	s_waitcnt lgkmcnt(0)
	ds_read2_b64 v[4:7], v82 offset1:30
	ds_read2_b64 v[0:3], v82 offset0:60 offset1:100
	ds_read2_b64 v[12:15], v82 offset0:200 offset1:230
	;; [unrolled: 1-line block ×3, first 2 shown]
	ds_read_b64 v[36:37], v82 offset:2080
	v_add_u32_e32 v41, 0x1e0, v82
	s_and_saveexec_b64 s[2:3], s[0:1]
	s_cbranch_execz .LBB0_7
; %bb.6:
	ds_read2_b64 v[32:35], v82 offset0:90 offset1:190
	ds_read_b64 v[38:39], v82 offset:2320
.LBB0_7:
	s_or_b64 exec, exec, s[2:3]
	s_waitcnt lgkmcnt(3)
	v_mul_f32_e32 v42, v21, v3
	v_fmac_f32_e32 v42, v20, v2
	v_mul_f32_e32 v2, v21, v2
	v_fma_f32 v20, v20, v3, -v2
	s_waitcnt lgkmcnt(2)
	v_mul_f32_e32 v21, v23, v13
	v_mul_f32_e32 v2, v23, v12
	v_fmac_f32_e32 v21, v22, v12
	v_fma_f32 v12, v22, v13, -v2
	s_waitcnt lgkmcnt(1)
	v_mul_f32_e32 v2, v25, v8
	v_fma_f32 v22, v24, v9, -v2
	v_mul_f32_e32 v23, v27, v15
	v_mul_f32_e32 v2, v27, v14
	v_fmac_f32_e32 v23, v26, v14
	v_fma_f32 v14, v26, v15, -v2
	v_mul_f32_e32 v2, v29, v10
	v_mul_f32_e32 v13, v25, v9
	v_fma_f32 v25, v28, v11, -v2
	s_waitcnt lgkmcnt(0)
	v_mul_f32_e32 v2, v31, v36
	v_add_f32_e32 v3, v42, v21
	v_fma_f32 v27, v30, v37, -v2
	v_add_f32_e32 v2, v4, v42
	v_fma_f32 v4, -0.5, v3, v4
	v_fmac_f32_e32 v13, v24, v8
	v_sub_f32_e32 v3, v20, v12
	v_mov_b32_e32 v8, v4
	v_add_f32_e32 v9, v20, v12
	v_mul_f32_e32 v24, v29, v11
	v_fmac_f32_e32 v8, 0xbf5db3d7, v3
	v_fmac_f32_e32 v4, 0x3f5db3d7, v3
	v_add_f32_e32 v3, v5, v20
	v_fma_f32 v5, -0.5, v9, v5
	v_fmac_f32_e32 v24, v28, v10
	v_sub_f32_e32 v10, v42, v21
	v_mov_b32_e32 v9, v5
	v_add_f32_e32 v11, v13, v23
	v_fmac_f32_e32 v9, 0x3f5db3d7, v10
	v_fmac_f32_e32 v5, 0xbf5db3d7, v10
	v_add_f32_e32 v10, v6, v13
	v_fma_f32 v6, -0.5, v11, v6
	v_add_f32_e32 v3, v3, v12
	v_sub_f32_e32 v11, v22, v14
	v_mov_b32_e32 v12, v6
	v_fmac_f32_e32 v12, 0xbf5db3d7, v11
	v_fmac_f32_e32 v6, 0x3f5db3d7, v11
	v_add_f32_e32 v11, v7, v22
	v_mul_f32_e32 v26, v31, v37
	v_add_f32_e32 v11, v11, v14
	v_add_f32_e32 v14, v22, v14
	v_fmac_f32_e32 v26, v30, v36
	v_fmac_f32_e32 v7, -0.5, v14
	v_sub_f32_e32 v14, v13, v23
	v_mov_b32_e32 v13, v7
	v_add_f32_e32 v15, v24, v26
	v_fmac_f32_e32 v13, 0x3f5db3d7, v14
	v_fmac_f32_e32 v7, 0xbf5db3d7, v14
	v_add_f32_e32 v14, v0, v24
	v_fma_f32 v0, -0.5, v15, v0
	v_add_f32_e32 v2, v2, v21
	v_sub_f32_e32 v15, v25, v27
	v_mov_b32_e32 v20, v0
	v_add_f32_e32 v21, v25, v27
	v_fmac_f32_e32 v20, 0xbf5db3d7, v15
	v_fmac_f32_e32 v0, 0x3f5db3d7, v15
	v_add_f32_e32 v15, v1, v25
	v_fmac_f32_e32 v1, -0.5, v21
	v_sub_f32_e32 v22, v24, v26
	v_mov_b32_e32 v21, v1
	v_add_f32_e32 v10, v10, v23
	v_add_f32_e32 v14, v14, v26
	;; [unrolled: 1-line block ×3, first 2 shown]
	v_fmac_f32_e32 v21, 0x3f5db3d7, v22
	v_fmac_f32_e32 v1, 0xbf5db3d7, v22
	ds_write_b64 v82, v[2:3]
	ds_write_b64 v40, v[8:9] offset:800
	ds_write_b64 v40, v[4:5] offset:1600
	;; [unrolled: 1-line block ×6, first 2 shown]
	ds_write2_b64 v41, v[20:21], v[0:1] offset0:100 offset1:200
	s_and_saveexec_b64 s[2:3], s[0:1]
	s_cbranch_execz .LBB0_9
; %bb.8:
	v_mul_f32_e32 v0, v17, v34
	v_fma_f32 v2, v16, v35, -v0
	v_mul_f32_e32 v0, v19, v38
	v_fma_f32 v4, v18, v39, -v0
	v_add_f32_e32 v0, v2, v4
	v_mul_f32_e32 v6, v17, v35
	v_mul_f32_e32 v7, v19, v39
	v_fma_f32 v1, -0.5, v0, v33
	v_fmac_f32_e32 v6, v16, v34
	v_fmac_f32_e32 v7, v18, v38
	v_sub_f32_e32 v0, v6, v7
	v_mov_b32_e32 v3, v1
	v_fmac_f32_e32 v3, 0xbf5db3d7, v0
	v_fmac_f32_e32 v1, 0x3f5db3d7, v0
	v_add_f32_e32 v0, v33, v2
	v_add_f32_e32 v5, v0, v4
	;; [unrolled: 1-line block ×3, first 2 shown]
	v_fma_f32 v0, -0.5, v0, v32
	v_sub_f32_e32 v4, v2, v4
	v_mov_b32_e32 v2, v0
	v_fmac_f32_e32 v2, 0x3f5db3d7, v4
	v_fmac_f32_e32 v0, 0xbf5db3d7, v4
	v_add_f32_e32 v4, v32, v6
	v_add_f32_e32 v4, v4, v7
	ds_write_b64 v82, v[4:5] offset:720
	v_add_u32_e32 v4, 0x400, v40
	ds_write2_b64 v4, v[0:1], v[2:3] offset0:62 offset1:162
.LBB0_9:
	s_or_b64 exec, exec, s[2:3]
	s_waitcnt lgkmcnt(0)
	; wave barrier
	s_waitcnt lgkmcnt(0)
	ds_read2_b64 v[0:3], v82 offset1:30
	v_mad_u64_u32 v[4:5], s[0:1], s10, v52, 0
	s_mov_b32 s0, 0xb4e81b4f
	s_mov_b32 s1, 0x3f6b4e81
	s_waitcnt lgkmcnt(0)
	v_mul_f32_e32 v6, v72, v1
	v_fmac_f32_e32 v6, v71, v0
	v_cvt_f64_f32_e32 v[6:7], v6
	v_mul_f32_e32 v0, v72, v0
	v_fma_f32 v0, v71, v1, -v0
	v_cvt_f64_f32_e32 v[0:1], v0
	v_mul_f64 v[6:7], v[6:7], s[0:1]
	v_mad_u64_u32 v[8:9], s[2:3], s8, v81, 0
	v_mul_f64 v[0:1], v[0:1], s[0:1]
	v_mad_u64_u32 v[10:11], s[2:3], s11, v52, v[5:6]
	v_mov_b32_e32 v5, v9
	v_mad_u64_u32 v[11:12], s[2:3], s9, v81, v[5:6]
	v_mov_b32_e32 v5, v10
	v_cvt_f32_f64_e32 v6, v[6:7]
	v_cvt_f32_f64_e32 v7, v[0:1]
	v_lshlrev_b64 v[0:1], 3, v[4:5]
	v_mul_f32_e32 v4, v70, v3
	v_fmac_f32_e32 v4, v69, v2
	v_mul_f32_e32 v2, v70, v2
	v_fma_f32 v2, v69, v3, -v2
	v_mov_b32_e32 v9, v11
	v_mov_b32_e32 v10, s5
	v_cvt_f64_f32_e32 v[2:3], v2
	v_add_co_u32_e32 v11, vcc, s4, v0
	v_cvt_f64_f32_e32 v[4:5], v4
	v_addc_co_u32_e32 v12, vcc, v10, v1, vcc
	v_lshlrev_b64 v[0:1], 3, v[8:9]
	v_mul_f64 v[8:9], v[2:3], s[0:1]
	v_add_co_u32_e32 v10, vcc, v11, v0
	v_addc_co_u32_e32 v11, vcc, v12, v1, vcc
	ds_read2_b64 v[0:3], v82 offset0:60 offset1:90
	v_mul_f64 v[4:5], v[4:5], s[0:1]
	global_store_dwordx2 v[10:11], v[6:7], off
	s_mul_i32 s2, s9, 0xf0
	s_mul_hi_u32 s3, s8, 0xf0
	s_waitcnt lgkmcnt(0)
	v_mul_f32_e32 v6, v68, v1
	v_fmac_f32_e32 v6, v67, v0
	v_mul_f32_e32 v0, v68, v0
	v_fma_f32 v0, v67, v1, -v0
	v_cvt_f64_f32_e32 v[6:7], v6
	v_cvt_f64_f32_e32 v[0:1], v0
	v_cvt_f32_f64_e32 v4, v[4:5]
	v_cvt_f32_f64_e32 v5, v[8:9]
	s_add_i32 s2, s3, s2
	s_mul_i32 s3, s8, 0xf0
	v_mov_b32_e32 v9, s2
	v_add_co_u32_e32 v8, vcc, s3, v10
	v_mul_f64 v[6:7], v[6:7], s[0:1]
	v_addc_co_u32_e32 v9, vcc, v11, v9, vcc
	v_mul_f64 v[0:1], v[0:1], s[0:1]
	global_store_dwordx2 v[8:9], v[4:5], off
	v_mul_f32_e32 v5, v62, v3
	v_fmac_f32_e32 v5, v61, v2
	v_mul_f32_e32 v2, v62, v2
	v_fma_f32 v2, v61, v3, -v2
	v_cvt_f64_f32_e32 v[2:3], v2
	v_cvt_f32_f64_e32 v4, v[6:7]
	v_cvt_f64_f32_e32 v[6:7], v5
	v_cvt_f32_f64_e32 v5, v[0:1]
	v_mul_f64 v[10:11], v[2:3], s[0:1]
	ds_read2_b64 v[0:3], v82 offset0:120 offset1:150
	v_mov_b32_e32 v12, s2
	v_add_co_u32_e32 v8, vcc, s3, v8
	v_addc_co_u32_e32 v9, vcc, v9, v12, vcc
	global_store_dwordx2 v[8:9], v[4:5], off
	s_waitcnt lgkmcnt(0)
	v_mul_f32_e32 v4, v66, v1
	v_fmac_f32_e32 v4, v65, v0
	v_cvt_f64_f32_e32 v[4:5], v4
	v_mul_f32_e32 v0, v66, v0
	v_fma_f32 v0, v65, v1, -v0
	v_mul_f64 v[6:7], v[6:7], s[0:1]
	v_mul_f64 v[4:5], v[4:5], s[0:1]
	v_cvt_f64_f32_e32 v[0:1], v0
	v_add_co_u32_e32 v8, vcc, s3, v8
	v_mul_f64 v[0:1], v[0:1], s[0:1]
	v_cvt_f32_f64_e32 v6, v[6:7]
	v_cvt_f32_f64_e32 v4, v[4:5]
	v_mul_f32_e32 v5, v60, v3
	v_fmac_f32_e32 v5, v59, v2
	v_mul_f32_e32 v2, v60, v2
	v_fma_f32 v2, v59, v3, -v2
	v_cvt_f32_f64_e32 v7, v[10:11]
	v_cvt_f64_f32_e32 v[2:3], v2
	v_mov_b32_e32 v10, s2
	v_addc_co_u32_e32 v9, vcc, v9, v10, vcc
	global_store_dwordx2 v[8:9], v[6:7], off
	v_cvt_f64_f32_e32 v[6:7], v5
	v_cvt_f32_f64_e32 v5, v[0:1]
	v_mul_f64 v[10:11], v[2:3], s[0:1]
	ds_read2_b64 v[0:3], v82 offset0:180 offset1:210
	v_add_co_u32_e32 v8, vcc, s3, v8
	v_addc_co_u32_e32 v9, vcc, v9, v12, vcc
	global_store_dwordx2 v[8:9], v[4:5], off
	s_waitcnt lgkmcnt(0)
	v_mul_f32_e32 v4, v64, v1
	v_fmac_f32_e32 v4, v63, v0
	v_cvt_f64_f32_e32 v[4:5], v4
	v_mul_f64 v[6:7], v[6:7], s[0:1]
	v_mul_f32_e32 v0, v64, v0
	v_fma_f32 v0, v63, v1, -v0
	v_mul_f64 v[4:5], v[4:5], s[0:1]
	v_cvt_f64_f32_e32 v[0:1], v0
	v_add_co_u32_e32 v8, vcc, s3, v8
	v_cvt_f32_f64_e32 v6, v[6:7]
	v_cvt_f32_f64_e32 v7, v[10:11]
	v_mul_f64 v[0:1], v[0:1], s[0:1]
	v_mov_b32_e32 v10, s2
	v_cvt_f32_f64_e32 v4, v[4:5]
	v_mul_f32_e32 v5, v58, v3
	v_addc_co_u32_e32 v9, vcc, v9, v10, vcc
	v_fmac_f32_e32 v5, v57, v2
	global_store_dwordx2 v[8:9], v[6:7], off
	v_cvt_f64_f32_e32 v[6:7], v5
	v_mul_f32_e32 v2, v58, v2
	v_fma_f32 v2, v57, v3, -v2
	v_cvt_f64_f32_e32 v[2:3], v2
	v_mul_f64 v[6:7], v[6:7], s[0:1]
	v_cvt_f32_f64_e32 v5, v[0:1]
	v_mov_b32_e32 v0, s2
	v_add_co_u32_e32 v8, vcc, s3, v8
	v_addc_co_u32_e32 v9, vcc, v9, v0, vcc
	v_add_u32_e32 v0, 0x400, v82
	v_mul_f64 v[10:11], v[2:3], s[0:1]
	ds_read2_b64 v[0:3], v0 offset0:112 offset1:142
	global_store_dwordx2 v[8:9], v[4:5], off
	v_cvt_f32_f64_e32 v4, v[6:7]
	v_add_co_u32_e32 v8, vcc, s3, v8
	s_waitcnt lgkmcnt(0)
	v_mul_f32_e32 v6, v56, v1
	v_fmac_f32_e32 v6, v55, v0
	v_mul_f32_e32 v0, v56, v0
	v_fma_f32 v0, v55, v1, -v0
	v_cvt_f32_f64_e32 v5, v[10:11]
	v_cvt_f64_f32_e32 v[6:7], v6
	v_cvt_f64_f32_e32 v[0:1], v0
	v_mov_b32_e32 v10, s2
	v_addc_co_u32_e32 v9, vcc, v9, v10, vcc
	global_store_dwordx2 v[8:9], v[4:5], off
	v_mul_f64 v[4:5], v[6:7], s[0:1]
	v_mul_f64 v[0:1], v[0:1], s[0:1]
	v_mul_f32_e32 v6, v54, v3
	v_fmac_f32_e32 v6, v53, v2
	v_mul_f32_e32 v2, v54, v2
	v_fma_f32 v2, v53, v3, -v2
	v_cvt_f64_f32_e32 v[6:7], v6
	v_cvt_f64_f32_e32 v[2:3], v2
	v_cvt_f32_f64_e32 v4, v[4:5]
	v_cvt_f32_f64_e32 v5, v[0:1]
	v_mul_f64 v[0:1], v[6:7], s[0:1]
	v_mul_f64 v[2:3], v[2:3], s[0:1]
	v_mov_b32_e32 v7, s2
	v_add_co_u32_e32 v6, vcc, s3, v8
	v_addc_co_u32_e32 v7, vcc, v9, v7, vcc
	global_store_dwordx2 v[6:7], v[4:5], off
	v_cvt_f32_f64_e32 v0, v[0:1]
	v_cvt_f32_f64_e32 v1, v[2:3]
	v_mov_b32_e32 v3, s2
	v_add_co_u32_e32 v2, vcc, s3, v6
	v_addc_co_u32_e32 v3, vcc, v7, v3, vcc
	global_store_dwordx2 v[2:3], v[0:1], off
.LBB0_10:
	s_endpgm
	.section	.rodata,"a",@progbits
	.p2align	6, 0x0
	.amdhsa_kernel bluestein_single_fwd_len300_dim1_sp_op_CI_CI
		.amdhsa_group_segment_fixed_size 4800
		.amdhsa_private_segment_fixed_size 0
		.amdhsa_kernarg_size 104
		.amdhsa_user_sgpr_count 6
		.amdhsa_user_sgpr_private_segment_buffer 1
		.amdhsa_user_sgpr_dispatch_ptr 0
		.amdhsa_user_sgpr_queue_ptr 0
		.amdhsa_user_sgpr_kernarg_segment_ptr 1
		.amdhsa_user_sgpr_dispatch_id 0
		.amdhsa_user_sgpr_flat_scratch_init 0
		.amdhsa_user_sgpr_private_segment_size 0
		.amdhsa_uses_dynamic_stack 0
		.amdhsa_system_sgpr_private_segment_wavefront_offset 0
		.amdhsa_system_sgpr_workgroup_id_x 1
		.amdhsa_system_sgpr_workgroup_id_y 0
		.amdhsa_system_sgpr_workgroup_id_z 0
		.amdhsa_system_sgpr_workgroup_info 0
		.amdhsa_system_vgpr_workitem_id 0
		.amdhsa_next_free_vgpr 113
		.amdhsa_next_free_sgpr 20
		.amdhsa_reserve_vcc 1
		.amdhsa_reserve_flat_scratch 0
		.amdhsa_float_round_mode_32 0
		.amdhsa_float_round_mode_16_64 0
		.amdhsa_float_denorm_mode_32 3
		.amdhsa_float_denorm_mode_16_64 3
		.amdhsa_dx10_clamp 1
		.amdhsa_ieee_mode 1
		.amdhsa_fp16_overflow 0
		.amdhsa_exception_fp_ieee_invalid_op 0
		.amdhsa_exception_fp_denorm_src 0
		.amdhsa_exception_fp_ieee_div_zero 0
		.amdhsa_exception_fp_ieee_overflow 0
		.amdhsa_exception_fp_ieee_underflow 0
		.amdhsa_exception_fp_ieee_inexact 0
		.amdhsa_exception_int_div_zero 0
	.end_amdhsa_kernel
	.text
.Lfunc_end0:
	.size	bluestein_single_fwd_len300_dim1_sp_op_CI_CI, .Lfunc_end0-bluestein_single_fwd_len300_dim1_sp_op_CI_CI
                                        ; -- End function
	.section	.AMDGPU.csdata,"",@progbits
; Kernel info:
; codeLenInByte = 8192
; NumSgprs: 24
; NumVgprs: 113
; ScratchSize: 0
; MemoryBound: 0
; FloatMode: 240
; IeeeMode: 1
; LDSByteSize: 4800 bytes/workgroup (compile time only)
; SGPRBlocks: 2
; VGPRBlocks: 28
; NumSGPRsForWavesPerEU: 24
; NumVGPRsForWavesPerEU: 113
; Occupancy: 2
; WaveLimiterHint : 1
; COMPUTE_PGM_RSRC2:SCRATCH_EN: 0
; COMPUTE_PGM_RSRC2:USER_SGPR: 6
; COMPUTE_PGM_RSRC2:TRAP_HANDLER: 0
; COMPUTE_PGM_RSRC2:TGID_X_EN: 1
; COMPUTE_PGM_RSRC2:TGID_Y_EN: 0
; COMPUTE_PGM_RSRC2:TGID_Z_EN: 0
; COMPUTE_PGM_RSRC2:TIDIG_COMP_CNT: 0
	.type	__hip_cuid_199af9d818a57d7a,@object ; @__hip_cuid_199af9d818a57d7a
	.section	.bss,"aw",@nobits
	.globl	__hip_cuid_199af9d818a57d7a
__hip_cuid_199af9d818a57d7a:
	.byte	0                               ; 0x0
	.size	__hip_cuid_199af9d818a57d7a, 1

	.ident	"AMD clang version 19.0.0git (https://github.com/RadeonOpenCompute/llvm-project roc-6.4.0 25133 c7fe45cf4b819c5991fe208aaa96edf142730f1d)"
	.section	".note.GNU-stack","",@progbits
	.addrsig
	.addrsig_sym __hip_cuid_199af9d818a57d7a
	.amdgpu_metadata
---
amdhsa.kernels:
  - .args:
      - .actual_access:  read_only
        .address_space:  global
        .offset:         0
        .size:           8
        .value_kind:     global_buffer
      - .actual_access:  read_only
        .address_space:  global
        .offset:         8
        .size:           8
        .value_kind:     global_buffer
      - .actual_access:  read_only
        .address_space:  global
        .offset:         16
        .size:           8
        .value_kind:     global_buffer
      - .actual_access:  read_only
        .address_space:  global
        .offset:         24
        .size:           8
        .value_kind:     global_buffer
      - .actual_access:  read_only
        .address_space:  global
        .offset:         32
        .size:           8
        .value_kind:     global_buffer
      - .offset:         40
        .size:           8
        .value_kind:     by_value
      - .address_space:  global
        .offset:         48
        .size:           8
        .value_kind:     global_buffer
      - .address_space:  global
        .offset:         56
        .size:           8
        .value_kind:     global_buffer
      - .address_space:  global
        .offset:         64
        .size:           8
        .value_kind:     global_buffer
      - .address_space:  global
        .offset:         72
        .size:           8
        .value_kind:     global_buffer
      - .offset:         80
        .size:           4
        .value_kind:     by_value
      - .address_space:  global
        .offset:         88
        .size:           8
        .value_kind:     global_buffer
      - .address_space:  global
        .offset:         96
        .size:           8
        .value_kind:     global_buffer
    .group_segment_fixed_size: 4800
    .kernarg_segment_align: 8
    .kernarg_segment_size: 104
    .language:       OpenCL C
    .language_version:
      - 2
      - 0
    .max_flat_workgroup_size: 60
    .name:           bluestein_single_fwd_len300_dim1_sp_op_CI_CI
    .private_segment_fixed_size: 0
    .sgpr_count:     24
    .sgpr_spill_count: 0
    .symbol:         bluestein_single_fwd_len300_dim1_sp_op_CI_CI.kd
    .uniform_work_group_size: 1
    .uses_dynamic_stack: false
    .vgpr_count:     113
    .vgpr_spill_count: 0
    .wavefront_size: 64
amdhsa.target:   amdgcn-amd-amdhsa--gfx906
amdhsa.version:
  - 1
  - 2
...

	.end_amdgpu_metadata
